;; amdgpu-corpus repo=ROCm/aiter kind=harvested arch=n/a opt=n/a

/root/src/amdgpu-assembly/repos/ROCm__aiter/hsa/gfx950/fmha_v3_bwd/bwd_hd64_odo_bf16_group.co:	file format elf64-amdgpu

Disassembly of section .text:

0000000000002400 <_ZN5aiter28fmha_bwd_hd64_odo_bf16_groupE>:
	s_and_b32 s1, s1, 0xffff                                   // 000000002400: 8601FF01 0000FFFF
	s_load_dwordx2 s[12:13], s[0:1], 0x0                       // 000000002408: C0060300 00000000
	s_load_dwordx2 s[20:21], s[0:1], 0x10                      // 000000002410: C0060500 00000010
	s_load_dwordx2 s[16:17], s[0:1], 0x20                      // 000000002418: C0060400 00000020
	s_load_dword s6, s[0:1], 0x30                              // 000000002420: C0020180 00000030
	s_load_dword s8, s[0:1], 0x50                              // 000000002428: C0020200 00000050
	s_load_dword s50, s[0:1], 0x60                             // 000000002430: C0020C80 00000060
	s_load_dword s52, s[0:1], 0x80                             // 000000002438: C0020D00 00000080
	s_load_dword s9, s[0:1], 0x90                              // 000000002440: C0020240 00000090
	s_load_dword s11, s[0:1], 0xb0                             // 000000002448: C00202C0 000000B0
	s_load_dword s37, s[0:1], 0xd0                             // 000000002450: C0020940 000000D0
	s_load_dwordx2 s[40:41], s[0:1], 0xe0                      // 000000002458: C0060A00 000000E0
	s_load_dwordx2 s[44:45], s[0:1], 0xf0                      // 000000002460: C0060B00 000000F0
	v_lshrrev_b32_e32 v1, 10, v0                               // 000000002468: 2002008A
	v_lshrrev_b32_e32 v2, 10, v1                               // 00000000246C: 2004028A
	v_and_b32_e32 v2, 0x3ff, v2                                // 000000002470: 260404FF 000003FF
	v_and_b32_e32 v1, 0x3ff, v1                                // 000000002478: 260202FF 000003FF
	v_and_b32_e32 v0, 0x3ff, v0                                // 000000002480: 260000FF 000003FF
	v_lshrrev_b32_e32 v3, 6, v0                                // 000000002488: 20060086
	v_and_b32_e32 v0, 63, v0                                   // 00000000248C: 260000BF
	s_mov_b32 s2, s2                                           // 000000002490: BE820002
	s_mov_b32 s3, s3                                           // 000000002494: BE830003
	s_mov_b32 s4, s4                                           // 000000002498: BE840004
	v_readfirstlane_b32 s30, v3                                // 00000000249C: 7E3C0503
	s_waitcnt lgkmcnt(0)                                       // 0000000024A0: BF8CC07F
	s_mul_i32 s31, s4, 4                                       // 0000000024A4: 921F8404
	s_add_u32 s40, s31, s40                                    // 0000000024A8: 8028281F
	s_addc_u32 s41, 0, s41                                     // 0000000024AC: 82292980
	s_load_dwordx2 s[42:43], s[40:41], 0x0                     // 0000000024B0: C0060A94 00000000
	s_add_u32 s44, s31, s44                                    // 0000000024B8: 802C2C1F
	s_addc_u32 s45, 0, s45                                     // 0000000024BC: 822D2D80
	s_load_dword s46, s[44:45], 0x0                            // 0000000024C0: C0020B96 00000000
	s_mov_b32 s15, 0x20000                                     // 0000000024C8: BE8F00FF 00020000
	s_mov_b32 s19, 0x20000                                     // 0000000024D0: BE9300FF 00020000
	s_mov_b32 s23, 0x20000                                     // 0000000024D8: BE9700FF 00020000
	s_and_b32 s13, s13, 0xffff                                 // 0000000024E0: 860DFF0D 0000FFFF
	s_and_b32 s17, s17, 0xffff                                 // 0000000024E8: 8611FF11 0000FFFF
	s_and_b32 s21, s21, 0xffff                                 // 0000000024F0: 8615FF15 0000FFFF
	s_or_b32 s13, s13, 0x40000                                 // 0000000024F8: 870DFF0D 00040000
	s_or_b32 s17, s17, 0x40000                                 // 000000002500: 8711FF11 00040000
	s_or_b32 s21, s21, 0x40000                                 // 000000002508: 8715FF15 00040000
	v_mov_b32_e32 v31, 0                                       // 000000002510: 7E3E0280
	s_mov_b32 s24, s12                                         // 000000002514: BE98000C
	s_mov_b32 s25, s13                                         // 000000002518: BE99000D
	s_mov_b32 s26, s16                                         // 00000000251C: BE9A0010
	s_mov_b32 s27, s17                                         // 000000002520: BE9B0011
	s_mov_b32 s28, s20                                         // 000000002524: BE9C0014
	s_mov_b32 s29, s21                                         // 000000002528: BE9D0015
	s_waitcnt lgkmcnt(0)                                       // 00000000252C: BF8CC07F
	s_mul_i32 s31, s2, 0x80                                    // 000000002530: 921FFF02 00000080
	s_sub_i32 s39, s43, s42                                    // 000000002538: 81A72A2B
	s_mov_b32 s42, s46                                         // 00000000253C: BEAA002E
	s_cmp_ge_i32 s31, s39                                      // 000000002540: BF03271F
	s_cbranch_scc1 label_0251                                  // 000000002544: BF8501FF
	s_mul_i32 s31, s8, 0x80                                    // 000000002548: 921FFF08 00000080
	s_mul_i32 s31, s2, s31                                     // 000000002550: 921F1F02
	s_mul_i32 s32, s3, s6                                      // 000000002554: 92200603
	s_mul_i32 s33, s42, s8                                     // 000000002558: 9221082A
	s_mul_hi_u32 s35, s42, s8                                  // 00000000255C: 9623082A
	s_add_u32 s34, s31, s32                                    // 000000002560: 8022201F
	s_add_u32 s34, s34, s33                                    // 000000002564: 80222122
	s_addc_u32 s35, s35, 0                                     // 000000002568: 82238023
	s_mul_i32 s32, s39, s8                                     // 00000000256C: 92200827
	s_sub_i32 s32, s32, s31                                    // 000000002570: 81A01F20
	s_mov_b32 s14, s32                                         // 000000002574: BE8E0020
	s_add_u32 s12, s34, s24                                    // 000000002578: 800C1822
	s_addc_u32 s13, s35, s25                                   // 00000000257C: 820D1923
	s_mul_i32 s31, s52, 0x80                                   // 000000002580: 921FFF34 00000080
	s_mul_i32 s31, s2, s31                                     // 000000002588: 921F1F02
	s_mul_i32 s32, s3, s50                                     // 00000000258C: 92203203
	s_mul_i32 s33, s42, s52                                    // 000000002590: 9221342A
	s_mul_hi_u32 s35, s42, s52                                 // 000000002594: 9623342A
	s_add_u32 s53, s31, s32                                    // 000000002598: 8035201F
	s_add_u32 s53, s53, s33                                    // 00000000259C: 80352135
	s_addc_u32 s35, s35, 0                                     // 0000000025A0: 82238023
	s_mul_i32 s32, s39, s52                                    // 0000000025A4: 92203427
	s_sub_i32 s32, s32, s31                                    // 0000000025A8: 81A01F20
	s_mov_b32 s22, s32                                         // 0000000025AC: BE960020
	s_add_u32 s20, s53, s28                                    // 0000000025B0: 80141C35
	s_addc_u32 s21, s35, s29                                   // 0000000025B4: 82151D23
	s_mul_i32 s31, s11, 0x80                                   // 0000000025B8: 921FFF0B 00000080
	s_mul_i32 s31, s2, s31                                     // 0000000025C0: 921F1F02
	s_mul_i32 s32, s3, s9                                      // 0000000025C4: 92200903
	s_add_u32 s35, s31, s32                                    // 0000000025C8: 8023201F
	s_mul_i32 s32, s39, s11                                    // 0000000025CC: 92200B27
	s_sub_i32 s32, s32, s31                                    // 0000000025D0: 81A01F20
	s_mov_b32 s18, s32                                         // 0000000025D4: BE920020
	s_add_u32 s16, s35, s26                                    // 0000000025D8: 80101A23
	s_addc_u32 s17, 0, s27                                     // 0000000025DC: 82111B80
	s_mul_i32 s31, s42, s11                                    // 0000000025E0: 921F0B2A
	s_mul_hi_u32 s32, s42, s11                                 // 0000000025E4: 96200B2A
	s_and_b32 s32, s32, 0xffff                                 // 0000000025E8: 8620FF20 0000FFFF
	s_add_u32 s16, s16, s31                                    // 0000000025F0: 80101F10
	s_addc_u32 s17, s17, s32                                   // 0000000025F4: 82112011
	v_readfirstlane_b32 s30, v3                                // 0000000025F8: 7E3C0503
	v_lshrrev_b32_e32 v20, 3, v0                               // 0000000025FC: 20280083
	v_mul_i32_i24_e32 v20, s8, v20                             // 000000002600: 0C282808
	v_and_b32_e32 v21, 7, v0                                   // 000000002604: 262A0087
	v_mul_i32_i24_e32 v21, 16, v21                             // 000000002608: 0C2A2A90
	v_add_u32_e32 v21, v20, v21                                // 00000000260C: 682A2B14
	v_mov_b32_e32 v4, v21                                      // 000000002610: 7E080315
	s_mul_i32 s31, 32, s8                                      // 000000002614: 921F08A0
	s_mul_i32 s31, s30, s31                                    // 000000002618: 921F1F1E
	v_add_u32_e32 v4, s31, v4                                  // 00000000261C: 6808081F
	v_lshrrev_b32_e32 v20, 3, v0                               // 000000002620: 20280083
	v_mul_i32_i24_e32 v20, s52, v20                            // 000000002624: 0C282834
	v_and_b32_e32 v21, 7, v0                                   // 000000002628: 262A0087
	v_mul_i32_i24_e32 v21, 16, v21                             // 00000000262C: 0C2A2A90
	v_add_u32_e32 v21, v20, v21                                // 000000002630: 682A2B14
	v_mov_b32_e32 v29, v21                                     // 000000002634: 7E3A0315
	s_mul_i32 s31, 32, s52                                     // 000000002638: 921F34A0
	s_mul_i32 s31, s30, s31                                    // 00000000263C: 921F1F1E
	v_add_u32_e32 v29, s31, v29                                // 000000002640: 683A3A1F
	v_lshrrev_b32_e32 v5, 3, v0                                // 000000002644: 200A0083
	v_mul_i32_i24_e32 v5, s11, v5                              // 000000002648: 0C0A0A0B
	v_and_b32_e32 v20, 7, v0                                   // 00000000264C: 26280087
	v_lshrrev_b32_e32 v20, 1, v20                              // 000000002650: 20282881
	v_lshlrev_b32_e32 v20, 5, v20                              // 000000002654: 24282885
	v_add_u32_e32 v5, v5, v20                                  // 000000002658: 680A2905
	s_mul_i32 s31, 32, s11                                     // 00000000265C: 921F0BA0
	s_mul_i32 s31, s30, s31                                    // 000000002660: 921F1F1E
	v_add_u32_e32 v5, s31, v5                                  // 000000002664: 680A0A1F
	v_and_b32_e32 v20, 7, v0                                   // 000000002668: 26280087
	v_lshlrev_b32_e32 v20, 3, v20                              // 00000000266C: 24282883
	s_sub_i32 s31, s37, 0                                      // 000000002670: 819F8025
	v_cmp_lt_u32_e64 s[36:37], v20, s31                        // 000000002674: D0C90024 00003F14
	v_and_b32_e32 v20, 1, v0                                   // 00000000267C: 26280081
	v_cmp_eq_u32_e64 s[38:39], v20, 0                          // 000000002680: D0CA0026 00010114
	v_lshlrev_b32_e32 v16, 2, v0                               // 000000002688: 24200082
	s_lshl_b32 s31, s30, 8                                     // 00000000268C: 8E1F881E
	v_add_u32_e32 v16, s31, v16                                // 000000002690: 6820201F
	v_lshrrev_b32_e32 v18, 3, v0                               // 000000002694: 20240083
	v_mul_i32_i24_e32 v18, 32, v18                             // 000000002698: 0C2424A0
	v_add_u32_e32 v18, s31, v18                                // 00000000269C: 6824241F
	v_add_u32_e32 v19, 16, v18                                 // 0000000026A0: 68262490
	v_mov_b32_e32 v14, 0                                       // 0000000026A4: 7E1C0280
	s_mul_i32 s31, s8, 0                                       // 0000000026A8: 921F8008
	s_lshl_b32 s31, s31, 3                                     // 0000000026AC: 8E1F831F
	v_add_u32_e32 v15, s31, v4                                 // 0000000026B0: 681E081F
	s_mul_i32 s31, s52, 0                                      // 0000000026B4: 921F8034
	s_lshl_b32 s31, s31, 3                                     // 0000000026B8: 8E1F831F
	v_add_u32_e32 v30, s31, v29                                // 0000000026BC: 683C3A1F
	v_and_b32_e32 v28, 7, v0                                   // 0000000026C0: 26380087
	v_cmp_eq_u32_e64 s[48:49], v28, 0                          // 0000000026C4: D0CA0030 0001011C
	v_mov_b32_e32 v10, 0                                       // 0000000026CC: 7E140280
	v_mov_b32_e32 v6, 0                                        // 0000000026D0: 7E0C0280
	v_mov_b32_e32 v11, 0                                       // 0000000026D4: 7E160280
	v_mov_b32_e32 v7, 0                                        // 0000000026D8: 7E0E0280
	v_mov_b32_e32 v12, 0                                       // 0000000026DC: 7E180280
	v_mov_b32_e32 v8, 0                                        // 0000000026E0: 7E100280
	v_mov_b32_e32 v13, 0                                       // 0000000026E4: 7E1A0280
	v_mov_b32_e32 v9, 0                                        // 0000000026E8: 7E120280
	s_mov_b64 exec, s[36:37]                                   // 0000000026EC: BEFE0124
	buffer_load_dwordx4 v[10:13], v30, s[20:23], 0 offen       // 0000000026F0: E05C1000 80050A1E
	buffer_load_dwordx4 v[6:9], v15, s[12:15], 0 offen         // 0000000026F8: E05C1000 8003060F
	s_mov_b64 exec, -1                                         // 000000002700: BEFE01C1
	v_add_u32_e32 v15, 0x80, v15                               // 000000002704: 681E1EFF 00000080
	v_add_u32_e32 v30, 0x80, v30                               // 00000000270C: 683C3CFF 00000080
	s_waitcnt vmcnt(0) expcnt(0) lgkmcnt(0)                    // 000000002714: BF8C0000
	s_barrier                                                  // 000000002718: BF8A0000
	v_mov_b32_e32 v24, 0                                       // 00000000271C: 7E300280
	v_and_b32_e32 v20, 0xffff, v6                              // 000000002720: 26280CFF 0000FFFF
	v_lshrrev_b32_e32 v21, 16, v6                              // 000000002728: 202A0C90
	v_and_b32_e32 v22, 0xffff, v10                             // 00000000272C: 262C14FF 0000FFFF
	v_lshrrev_b32_e32 v23, 16, v10                             // 000000002734: 202E1490
	v_cvt_f32_bf16_e32 v20, v20                                // 000000002738: 7E28B714
	v_cvt_f32_bf16_e32 v22, v22                                // 00000000273C: 7E2CB716
	v_cvt_f32_bf16_e32 v21, v21                                // 000000002740: 7E2AB715
	v_cvt_f32_bf16_e32 v23, v23                                // 000000002744: 7E2EB717
	v_fma_f32 v24, v20, v22, v24                               // 000000002748: D1CB0018 04622D14
	v_fma_f32 v24, v21, v23, v24                               // 000000002750: D1CB0018 04622F15
	v_and_b32_e32 v20, 0xffff, v7                              // 000000002758: 26280EFF 0000FFFF
	v_lshrrev_b32_e32 v21, 16, v7                              // 000000002760: 202A0E90
	v_and_b32_e32 v22, 0xffff, v11                             // 000000002764: 262C16FF 0000FFFF
	v_lshrrev_b32_e32 v23, 16, v11                             // 00000000276C: 202E1690
	v_cvt_f32_bf16_e32 v20, v20                                // 000000002770: 7E28B714
	v_cvt_f32_bf16_e32 v22, v22                                // 000000002774: 7E2CB716
	v_cvt_f32_bf16_e32 v21, v21                                // 000000002778: 7E2AB715
	v_cvt_f32_bf16_e32 v23, v23                                // 00000000277C: 7E2EB717
	v_fma_f32 v24, v20, v22, v24                               // 000000002780: D1CB0018 04622D14
	v_fma_f32 v24, v21, v23, v24                               // 000000002788: D1CB0018 04622F15
	v_and_b32_e32 v20, 0xffff, v8                              // 000000002790: 262810FF 0000FFFF
	v_lshrrev_b32_e32 v21, 16, v8                              // 000000002798: 202A1090
	v_and_b32_e32 v22, 0xffff, v12                             // 00000000279C: 262C18FF 0000FFFF
	v_lshrrev_b32_e32 v23, 16, v12                             // 0000000027A4: 202E1890
	v_cvt_f32_bf16_e32 v20, v20                                // 0000000027A8: 7E28B714
	v_cvt_f32_bf16_e32 v22, v22                                // 0000000027AC: 7E2CB716
	v_cvt_f32_bf16_e32 v21, v21                                // 0000000027B0: 7E2AB715
	v_cvt_f32_bf16_e32 v23, v23                                // 0000000027B4: 7E2EB717
	v_fma_f32 v24, v20, v22, v24                               // 0000000027B8: D1CB0018 04622D14
	v_fma_f32 v24, v21, v23, v24                               // 0000000027C0: D1CB0018 04622F15
	v_and_b32_e32 v20, 0xffff, v9                              // 0000000027C8: 262812FF 0000FFFF
	v_lshrrev_b32_e32 v21, 16, v9                              // 0000000027D0: 202A1290
	v_and_b32_e32 v22, 0xffff, v13                             // 0000000027D4: 262C1AFF 0000FFFF
	v_lshrrev_b32_e32 v23, 16, v13                             // 0000000027DC: 202E1A90
	v_cvt_f32_bf16_e32 v20, v20                                // 0000000027E0: 7E28B714
	v_cvt_f32_bf16_e32 v22, v22                                // 0000000027E4: 7E2CB716
	v_cvt_f32_bf16_e32 v21, v21                                // 0000000027E8: 7E2AB715
	v_cvt_f32_bf16_e32 v23, v23                                // 0000000027EC: 7E2EB717
	v_fma_f32 v24, v20, v22, v24                               // 0000000027F0: D1CB0018 04622D14
	v_fma_f32 v24, v21, v23, v24                               // 0000000027F8: D1CB0018 04622F15
	ds_write_b32 v16, v24                                      // 000000002800: D81A0000 00001810
	s_waitcnt lgkmcnt(0)                                       // 000000002808: BF8CC07F
	s_mov_b64 exec, s[48:49]                                   // 00000000280C: BEFE0130
	ds_read_b128 v[20:23], v18                                 // 000000002810: D9FE0000 14000012
	s_waitcnt lgkmcnt(0)                                       // 000000002818: BF8CC07F
	ds_read_b128 v[24:27], v19                                 // 00000000281C: D9FE0000 18000013
	s_waitcnt lgkmcnt(0)                                       // 000000002824: BF8CC07F
	v_add_f32_e32 v14, v20, v14                                // 000000002828: 021C1D14
	v_add_f32_e32 v14, v21, v14                                // 00000000282C: 021C1D15
	v_add_f32_e32 v14, v22, v14                                // 000000002830: 021C1D16
	v_add_f32_e32 v14, v23, v14                                // 000000002834: 021C1D17
	v_add_f32_e32 v14, v24, v14                                // 000000002838: 021C1D18
	v_add_f32_e32 v14, v25, v14                                // 00000000283C: 021C1D19
	v_add_f32_e32 v14, v26, v14                                // 000000002840: 021C1D1A
	v_add_f32_e32 v14, v27, v14                                // 000000002844: 021C1D1B
	s_mov_b64 exec, -1                                         // 000000002848: BEFE01C1
	s_mul_i32 s31, s8, 1                                       // 00000000284C: 921F8108
	s_lshl_b32 s31, s31, 3                                     // 000000002850: 8E1F831F
	v_add_u32_e32 v15, s31, v4                                 // 000000002854: 681E081F
	s_mul_i32 s31, s52, 1                                      // 000000002858: 921F8134
	s_lshl_b32 s31, s31, 3                                     // 00000000285C: 8E1F831F
	v_add_u32_e32 v30, s31, v29                                // 000000002860: 683C3A1F
	v_and_b32_e32 v28, 7, v0                                   // 000000002864: 26380087
	v_cmp_eq_u32_e64 s[48:49], v28, 2                          // 000000002868: D0CA0030 0001051C
	v_mov_b32_e32 v10, 0                                       // 000000002870: 7E140280
	v_mov_b32_e32 v6, 0                                        // 000000002874: 7E0C0280
	v_mov_b32_e32 v11, 0                                       // 000000002878: 7E160280
	v_mov_b32_e32 v7, 0                                        // 00000000287C: 7E0E0280
	v_mov_b32_e32 v12, 0                                       // 000000002880: 7E180280
	v_mov_b32_e32 v8, 0                                        // 000000002884: 7E100280
	v_mov_b32_e32 v13, 0                                       // 000000002888: 7E1A0280
	v_mov_b32_e32 v9, 0                                        // 00000000288C: 7E120280
	s_mov_b64 exec, s[36:37]                                   // 000000002890: BEFE0124
	buffer_load_dwordx4 v[10:13], v30, s[20:23], 0 offen       // 000000002894: E05C1000 80050A1E
	buffer_load_dwordx4 v[6:9], v15, s[12:15], 0 offen         // 00000000289C: E05C1000 8003060F
	s_mov_b64 exec, -1                                         // 0000000028A4: BEFE01C1
	v_add_u32_e32 v15, 0x80, v15                               // 0000000028A8: 681E1EFF 00000080
	v_add_u32_e32 v30, 0x80, v30                               // 0000000028B0: 683C3CFF 00000080
	s_waitcnt vmcnt(0) expcnt(0) lgkmcnt(0)                    // 0000000028B8: BF8C0000
	s_barrier                                                  // 0000000028BC: BF8A0000
	v_mov_b32_e32 v24, 0                                       // 0000000028C0: 7E300280
	v_and_b32_e32 v20, 0xffff, v6                              // 0000000028C4: 26280CFF 0000FFFF
	v_lshrrev_b32_e32 v21, 16, v6                              // 0000000028CC: 202A0C90
	v_and_b32_e32 v22, 0xffff, v10                             // 0000000028D0: 262C14FF 0000FFFF
	v_lshrrev_b32_e32 v23, 16, v10                             // 0000000028D8: 202E1490
	v_cvt_f32_bf16_e32 v20, v20                                // 0000000028DC: 7E28B714
	v_cvt_f32_bf16_e32 v22, v22                                // 0000000028E0: 7E2CB716
	v_cvt_f32_bf16_e32 v21, v21                                // 0000000028E4: 7E2AB715
	v_cvt_f32_bf16_e32 v23, v23                                // 0000000028E8: 7E2EB717
	v_fma_f32 v24, v20, v22, v24                               // 0000000028EC: D1CB0018 04622D14
	v_fma_f32 v24, v21, v23, v24                               // 0000000028F4: D1CB0018 04622F15
	v_and_b32_e32 v20, 0xffff, v7                              // 0000000028FC: 26280EFF 0000FFFF
	v_lshrrev_b32_e32 v21, 16, v7                              // 000000002904: 202A0E90
	v_and_b32_e32 v22, 0xffff, v11                             // 000000002908: 262C16FF 0000FFFF
	v_lshrrev_b32_e32 v23, 16, v11                             // 000000002910: 202E1690
	v_cvt_f32_bf16_e32 v20, v20                                // 000000002914: 7E28B714
	v_cvt_f32_bf16_e32 v22, v22                                // 000000002918: 7E2CB716
	v_cvt_f32_bf16_e32 v21, v21                                // 00000000291C: 7E2AB715
	v_cvt_f32_bf16_e32 v23, v23                                // 000000002920: 7E2EB717
	v_fma_f32 v24, v20, v22, v24                               // 000000002924: D1CB0018 04622D14
	v_fma_f32 v24, v21, v23, v24                               // 00000000292C: D1CB0018 04622F15
	v_and_b32_e32 v20, 0xffff, v8                              // 000000002934: 262810FF 0000FFFF
	v_lshrrev_b32_e32 v21, 16, v8                              // 00000000293C: 202A1090
	v_and_b32_e32 v22, 0xffff, v12                             // 000000002940: 262C18FF 0000FFFF
	v_lshrrev_b32_e32 v23, 16, v12                             // 000000002948: 202E1890
	v_cvt_f32_bf16_e32 v20, v20                                // 00000000294C: 7E28B714
	v_cvt_f32_bf16_e32 v22, v22                                // 000000002950: 7E2CB716
	v_cvt_f32_bf16_e32 v21, v21                                // 000000002954: 7E2AB715
	v_cvt_f32_bf16_e32 v23, v23                                // 000000002958: 7E2EB717
	v_fma_f32 v24, v20, v22, v24                               // 00000000295C: D1CB0018 04622D14
	v_fma_f32 v24, v21, v23, v24                               // 000000002964: D1CB0018 04622F15
	v_and_b32_e32 v20, 0xffff, v9                              // 00000000296C: 262812FF 0000FFFF
	v_lshrrev_b32_e32 v21, 16, v9                              // 000000002974: 202A1290
	v_and_b32_e32 v22, 0xffff, v13                             // 000000002978: 262C1AFF 0000FFFF
	v_lshrrev_b32_e32 v23, 16, v13                             // 000000002980: 202E1A90
	v_cvt_f32_bf16_e32 v20, v20                                // 000000002984: 7E28B714
	v_cvt_f32_bf16_e32 v22, v22                                // 000000002988: 7E2CB716
	v_cvt_f32_bf16_e32 v21, v21                                // 00000000298C: 7E2AB715
	v_cvt_f32_bf16_e32 v23, v23                                // 000000002990: 7E2EB717
	v_fma_f32 v24, v20, v22, v24                               // 000000002994: D1CB0018 04622D14
	v_fma_f32 v24, v21, v23, v24                               // 00000000299C: D1CB0018 04622F15
	ds_write_b32 v16, v24                                      // 0000000029A4: D81A0000 00001810
	s_waitcnt lgkmcnt(0)                                       // 0000000029AC: BF8CC07F
	s_mov_b64 exec, s[48:49]                                   // 0000000029B0: BEFE0130
	ds_read_b128 v[20:23], v18                                 // 0000000029B4: D9FE0000 14000012
	s_waitcnt lgkmcnt(0)                                       // 0000000029BC: BF8CC07F
	ds_read_b128 v[24:27], v19                                 // 0000000029C0: D9FE0000 18000013
	s_waitcnt lgkmcnt(0)                                       // 0000000029C8: BF8CC07F
	v_add_f32_e32 v14, v20, v14                                // 0000000029CC: 021C1D14
	v_add_f32_e32 v14, v21, v14                                // 0000000029D0: 021C1D15
	v_add_f32_e32 v14, v22, v14                                // 0000000029D4: 021C1D16
	v_add_f32_e32 v14, v23, v14                                // 0000000029D8: 021C1D17
	v_add_f32_e32 v14, v24, v14                                // 0000000029DC: 021C1D18
	v_add_f32_e32 v14, v25, v14                                // 0000000029E0: 021C1D19
	v_add_f32_e32 v14, v26, v14                                // 0000000029E4: 021C1D1A
	v_add_f32_e32 v14, v27, v14                                // 0000000029E8: 021C1D1B
	s_mov_b64 exec, -1                                         // 0000000029EC: BEFE01C1
	s_mul_i32 s31, s8, 2                                       // 0000000029F0: 921F8208
	s_lshl_b32 s31, s31, 3                                     // 0000000029F4: 8E1F831F
	v_add_u32_e32 v15, s31, v4                                 // 0000000029F8: 681E081F
	s_mul_i32 s31, s52, 2                                      // 0000000029FC: 921F8234
	s_lshl_b32 s31, s31, 3                                     // 000000002A00: 8E1F831F
	v_add_u32_e32 v30, s31, v29                                // 000000002A04: 683C3A1F
	v_and_b32_e32 v28, 7, v0                                   // 000000002A08: 26380087
	v_cmp_eq_u32_e64 s[48:49], v28, 4                          // 000000002A0C: D0CA0030 0001091C
	v_mov_b32_e32 v10, 0                                       // 000000002A14: 7E140280
	v_mov_b32_e32 v6, 0                                        // 000000002A18: 7E0C0280
	v_mov_b32_e32 v11, 0                                       // 000000002A1C: 7E160280
	v_mov_b32_e32 v7, 0                                        // 000000002A20: 7E0E0280
	v_mov_b32_e32 v12, 0                                       // 000000002A24: 7E180280
	v_mov_b32_e32 v8, 0                                        // 000000002A28: 7E100280
	v_mov_b32_e32 v13, 0                                       // 000000002A2C: 7E1A0280
	v_mov_b32_e32 v9, 0                                        // 000000002A30: 7E120280
	s_mov_b64 exec, s[36:37]                                   // 000000002A34: BEFE0124
	buffer_load_dwordx4 v[10:13], v30, s[20:23], 0 offen       // 000000002A38: E05C1000 80050A1E
	buffer_load_dwordx4 v[6:9], v15, s[12:15], 0 offen         // 000000002A40: E05C1000 8003060F
	s_mov_b64 exec, -1                                         // 000000002A48: BEFE01C1
	v_add_u32_e32 v15, 0x80, v15                               // 000000002A4C: 681E1EFF 00000080
	v_add_u32_e32 v30, 0x80, v30                               // 000000002A54: 683C3CFF 00000080
	s_waitcnt vmcnt(0) expcnt(0) lgkmcnt(0)                    // 000000002A5C: BF8C0000
	s_barrier                                                  // 000000002A60: BF8A0000
	v_mov_b32_e32 v24, 0                                       // 000000002A64: 7E300280
	v_and_b32_e32 v20, 0xffff, v6                              // 000000002A68: 26280CFF 0000FFFF
	v_lshrrev_b32_e32 v21, 16, v6                              // 000000002A70: 202A0C90
	v_and_b32_e32 v22, 0xffff, v10                             // 000000002A74: 262C14FF 0000FFFF
	v_lshrrev_b32_e32 v23, 16, v10                             // 000000002A7C: 202E1490
	v_cvt_f32_bf16_e32 v20, v20                                // 000000002A80: 7E28B714
	v_cvt_f32_bf16_e32 v22, v22                                // 000000002A84: 7E2CB716
	v_cvt_f32_bf16_e32 v21, v21                                // 000000002A88: 7E2AB715
	v_cvt_f32_bf16_e32 v23, v23                                // 000000002A8C: 7E2EB717
	v_fma_f32 v24, v20, v22, v24                               // 000000002A90: D1CB0018 04622D14
	v_fma_f32 v24, v21, v23, v24                               // 000000002A98: D1CB0018 04622F15
	v_and_b32_e32 v20, 0xffff, v7                              // 000000002AA0: 26280EFF 0000FFFF
	v_lshrrev_b32_e32 v21, 16, v7                              // 000000002AA8: 202A0E90
	v_and_b32_e32 v22, 0xffff, v11                             // 000000002AAC: 262C16FF 0000FFFF
	v_lshrrev_b32_e32 v23, 16, v11                             // 000000002AB4: 202E1690
	v_cvt_f32_bf16_e32 v20, v20                                // 000000002AB8: 7E28B714
	v_cvt_f32_bf16_e32 v22, v22                                // 000000002ABC: 7E2CB716
	v_cvt_f32_bf16_e32 v21, v21                                // 000000002AC0: 7E2AB715
	v_cvt_f32_bf16_e32 v23, v23                                // 000000002AC4: 7E2EB717
	v_fma_f32 v24, v20, v22, v24                               // 000000002AC8: D1CB0018 04622D14
	v_fma_f32 v24, v21, v23, v24                               // 000000002AD0: D1CB0018 04622F15
	v_and_b32_e32 v20, 0xffff, v8                              // 000000002AD8: 262810FF 0000FFFF
	v_lshrrev_b32_e32 v21, 16, v8                              // 000000002AE0: 202A1090
	v_and_b32_e32 v22, 0xffff, v12                             // 000000002AE4: 262C18FF 0000FFFF
	v_lshrrev_b32_e32 v23, 16, v12                             // 000000002AEC: 202E1890
	v_cvt_f32_bf16_e32 v20, v20                                // 000000002AF0: 7E28B714
	v_cvt_f32_bf16_e32 v22, v22                                // 000000002AF4: 7E2CB716
	v_cvt_f32_bf16_e32 v21, v21                                // 000000002AF8: 7E2AB715
	v_cvt_f32_bf16_e32 v23, v23                                // 000000002AFC: 7E2EB717
	v_fma_f32 v24, v20, v22, v24                               // 000000002B00: D1CB0018 04622D14
	v_fma_f32 v24, v21, v23, v24                               // 000000002B08: D1CB0018 04622F15
	v_and_b32_e32 v20, 0xffff, v9                              // 000000002B10: 262812FF 0000FFFF
	v_lshrrev_b32_e32 v21, 16, v9                              // 000000002B18: 202A1290
	v_and_b32_e32 v22, 0xffff, v13                             // 000000002B1C: 262C1AFF 0000FFFF
	v_lshrrev_b32_e32 v23, 16, v13                             // 000000002B24: 202E1A90
	v_cvt_f32_bf16_e32 v20, v20                                // 000000002B28: 7E28B714
	v_cvt_f32_bf16_e32 v22, v22                                // 000000002B2C: 7E2CB716
	v_cvt_f32_bf16_e32 v21, v21                                // 000000002B30: 7E2AB715
	v_cvt_f32_bf16_e32 v23, v23                                // 000000002B34: 7E2EB717
	v_fma_f32 v24, v20, v22, v24                               // 000000002B38: D1CB0018 04622D14
	v_fma_f32 v24, v21, v23, v24                               // 000000002B40: D1CB0018 04622F15
	ds_write_b32 v16, v24                                      // 000000002B48: D81A0000 00001810
	s_waitcnt lgkmcnt(0)                                       // 000000002B50: BF8CC07F
	s_mov_b64 exec, s[48:49]                                   // 000000002B54: BEFE0130
	ds_read_b128 v[20:23], v18                                 // 000000002B58: D9FE0000 14000012
	s_waitcnt lgkmcnt(0)                                       // 000000002B60: BF8CC07F
	ds_read_b128 v[24:27], v19                                 // 000000002B64: D9FE0000 18000013
	s_waitcnt lgkmcnt(0)                                       // 000000002B6C: BF8CC07F
	v_add_f32_e32 v14, v20, v14                                // 000000002B70: 021C1D14
	v_add_f32_e32 v14, v21, v14                                // 000000002B74: 021C1D15
	v_add_f32_e32 v14, v22, v14                                // 000000002B78: 021C1D16
	v_add_f32_e32 v14, v23, v14                                // 000000002B7C: 021C1D17
	v_add_f32_e32 v14, v24, v14                                // 000000002B80: 021C1D18
	v_add_f32_e32 v14, v25, v14                                // 000000002B84: 021C1D19
	v_add_f32_e32 v14, v26, v14                                // 000000002B88: 021C1D1A
	v_add_f32_e32 v14, v27, v14                                // 000000002B8C: 021C1D1B
	s_mov_b64 exec, -1                                         // 000000002B90: BEFE01C1
	s_mul_i32 s31, s8, 3                                       // 000000002B94: 921F8308
	s_lshl_b32 s31, s31, 3                                     // 000000002B98: 8E1F831F
	v_add_u32_e32 v15, s31, v4                                 // 000000002B9C: 681E081F
	s_mul_i32 s31, s52, 3                                      // 000000002BA0: 921F8334
	s_lshl_b32 s31, s31, 3                                     // 000000002BA4: 8E1F831F
	v_add_u32_e32 v30, s31, v29                                // 000000002BA8: 683C3A1F
	v_and_b32_e32 v28, 7, v0                                   // 000000002BAC: 26380087
	v_cmp_eq_u32_e64 s[48:49], v28, 6                          // 000000002BB0: D0CA0030 00010D1C
	v_mov_b32_e32 v10, 0                                       // 000000002BB8: 7E140280
	v_mov_b32_e32 v6, 0                                        // 000000002BBC: 7E0C0280
	v_mov_b32_e32 v11, 0                                       // 000000002BC0: 7E160280
	v_mov_b32_e32 v7, 0                                        // 000000002BC4: 7E0E0280
	v_mov_b32_e32 v12, 0                                       // 000000002BC8: 7E180280
	v_mov_b32_e32 v8, 0                                        // 000000002BCC: 7E100280
	v_mov_b32_e32 v13, 0                                       // 000000002BD0: 7E1A0280
	v_mov_b32_e32 v9, 0                                        // 000000002BD4: 7E120280
	s_mov_b64 exec, s[36:37]                                   // 000000002BD8: BEFE0124
	buffer_load_dwordx4 v[10:13], v30, s[20:23], 0 offen       // 000000002BDC: E05C1000 80050A1E
	buffer_load_dwordx4 v[6:9], v15, s[12:15], 0 offen         // 000000002BE4: E05C1000 8003060F
	s_mov_b64 exec, -1                                         // 000000002BEC: BEFE01C1
	v_add_u32_e32 v15, 0x80, v15                               // 000000002BF0: 681E1EFF 00000080
	v_add_u32_e32 v30, 0x80, v30                               // 000000002BF8: 683C3CFF 00000080
	s_waitcnt vmcnt(0) expcnt(0) lgkmcnt(0)                    // 000000002C00: BF8C0000
	s_barrier                                                  // 000000002C04: BF8A0000
	v_mov_b32_e32 v24, 0                                       // 000000002C08: 7E300280
	v_and_b32_e32 v20, 0xffff, v6                              // 000000002C0C: 26280CFF 0000FFFF
	v_lshrrev_b32_e32 v21, 16, v6                              // 000000002C14: 202A0C90
	v_and_b32_e32 v22, 0xffff, v10                             // 000000002C18: 262C14FF 0000FFFF
	v_lshrrev_b32_e32 v23, 16, v10                             // 000000002C20: 202E1490
	v_cvt_f32_bf16_e32 v20, v20                                // 000000002C24: 7E28B714
	v_cvt_f32_bf16_e32 v22, v22                                // 000000002C28: 7E2CB716
	v_cvt_f32_bf16_e32 v21, v21                                // 000000002C2C: 7E2AB715
	v_cvt_f32_bf16_e32 v23, v23                                // 000000002C30: 7E2EB717
	v_fma_f32 v24, v20, v22, v24                               // 000000002C34: D1CB0018 04622D14
	v_fma_f32 v24, v21, v23, v24                               // 000000002C3C: D1CB0018 04622F15
	v_and_b32_e32 v20, 0xffff, v7                              // 000000002C44: 26280EFF 0000FFFF
	v_lshrrev_b32_e32 v21, 16, v7                              // 000000002C4C: 202A0E90
	v_and_b32_e32 v22, 0xffff, v11                             // 000000002C50: 262C16FF 0000FFFF
	v_lshrrev_b32_e32 v23, 16, v11                             // 000000002C58: 202E1690
	v_cvt_f32_bf16_e32 v20, v20                                // 000000002C5C: 7E28B714
	v_cvt_f32_bf16_e32 v22, v22                                // 000000002C60: 7E2CB716
	v_cvt_f32_bf16_e32 v21, v21                                // 000000002C64: 7E2AB715
	v_cvt_f32_bf16_e32 v23, v23                                // 000000002C68: 7E2EB717
	v_fma_f32 v24, v20, v22, v24                               // 000000002C6C: D1CB0018 04622D14
	v_fma_f32 v24, v21, v23, v24                               // 000000002C74: D1CB0018 04622F15
	v_and_b32_e32 v20, 0xffff, v8                              // 000000002C7C: 262810FF 0000FFFF
	v_lshrrev_b32_e32 v21, 16, v8                              // 000000002C84: 202A1090
	v_and_b32_e32 v22, 0xffff, v12                             // 000000002C88: 262C18FF 0000FFFF
	v_lshrrev_b32_e32 v23, 16, v12                             // 000000002C90: 202E1890
	v_cvt_f32_bf16_e32 v20, v20                                // 000000002C94: 7E28B714
	v_cvt_f32_bf16_e32 v22, v22                                // 000000002C98: 7E2CB716
	v_cvt_f32_bf16_e32 v21, v21                                // 000000002C9C: 7E2AB715
	v_cvt_f32_bf16_e32 v23, v23                                // 000000002CA0: 7E2EB717
	v_fma_f32 v24, v20, v22, v24                               // 000000002CA4: D1CB0018 04622D14
	v_fma_f32 v24, v21, v23, v24                               // 000000002CAC: D1CB0018 04622F15
	v_and_b32_e32 v20, 0xffff, v9                              // 000000002CB4: 262812FF 0000FFFF
	v_lshrrev_b32_e32 v21, 16, v9                              // 000000002CBC: 202A1290
	v_and_b32_e32 v22, 0xffff, v13                             // 000000002CC0: 262C1AFF 0000FFFF
	v_lshrrev_b32_e32 v23, 16, v13                             // 000000002CC8: 202E1A90
	v_cvt_f32_bf16_e32 v20, v20                                // 000000002CCC: 7E28B714
	v_cvt_f32_bf16_e32 v22, v22                                // 000000002CD0: 7E2CB716
	v_cvt_f32_bf16_e32 v21, v21                                // 000000002CD4: 7E2AB715
	v_cvt_f32_bf16_e32 v23, v23                                // 000000002CD8: 7E2EB717
	v_fma_f32 v24, v20, v22, v24                               // 000000002CDC: D1CB0018 04622D14
	v_fma_f32 v24, v21, v23, v24                               // 000000002CE4: D1CB0018 04622F15
	ds_write_b32 v16, v24                                      // 000000002CEC: D81A0000 00001810
	s_waitcnt lgkmcnt(0)                                       // 000000002CF4: BF8CC07F
	s_mov_b64 exec, s[48:49]                                   // 000000002CF8: BEFE0130
	ds_read_b128 v[20:23], v18                                 // 000000002CFC: D9FE0000 14000012
	s_waitcnt lgkmcnt(0)                                       // 000000002D04: BF8CC07F
	ds_read_b128 v[24:27], v19                                 // 000000002D08: D9FE0000 18000013
	s_waitcnt lgkmcnt(0)                                       // 000000002D10: BF8CC07F
	v_add_f32_e32 v14, v20, v14                                // 000000002D14: 021C1D14
	v_add_f32_e32 v14, v21, v14                                // 000000002D18: 021C1D15
	v_add_f32_e32 v14, v22, v14                                // 000000002D1C: 021C1D16
	v_add_f32_e32 v14, v23, v14                                // 000000002D20: 021C1D17
	v_add_f32_e32 v14, v24, v14                                // 000000002D24: 021C1D18
	v_add_f32_e32 v14, v25, v14                                // 000000002D28: 021C1D19
	v_add_f32_e32 v14, v26, v14                                // 000000002D2C: 021C1D1A
	v_add_f32_e32 v14, v27, v14                                // 000000002D30: 021C1D1B
	s_mov_b64 exec, -1                                         // 000000002D34: BEFE01C1
	s_mov_b64 exec, s[38:39]                                   // 000000002D38: BEFE0126
	buffer_store_dword v14, v5, s[16:19], 0 offen              // 000000002D3C: E0701000 80040E05

0000000000002d44 <label_0251>:
	s_waitcnt vmcnt(0) expcnt(0) lgkmcnt(0)                    // 000000002D44: BF8C0000
	s_endpgm                                                   // 000000002D48: BF810000
